;; amdgpu-corpus repo=zjin-lcf/HeCBench kind=compiled arch=gfx950 opt=O3
	.amdgcn_target "amdgcn-amd-amdhsa--gfx950"
	.amdhsa_code_object_version 6
	.text
	.protected	_Z21binomialOptionsKernelPK13__TOptionDataPf ; -- Begin function _Z21binomialOptionsKernelPK13__TOptionDataPf
	.globl	_Z21binomialOptionsKernelPK13__TOptionDataPf
	.p2align	8
	.type	_Z21binomialOptionsKernelPK13__TOptionDataPf,@function
_Z21binomialOptionsKernelPK13__TOptionDataPf: ; @_Z21binomialOptionsKernelPK13__TOptionDataPf
; %bb.0:
	s_load_dwordx4 s[4:7], s[0:1], 0x0
	s_mul_i32 s0, s2, 20
	s_mul_hi_u32 s1, s2, 20
	s_mov_b32 s3, 0
	v_cmp_eq_u32_e32 vcc, 0, v0
	s_waitcnt lgkmcnt(0)
	s_add_u32 s0, s4, s0
	s_addc_u32 s1, s5, s1
	s_load_dwordx4 s[8:11], s[0:1], 0x0
	s_load_dword s5, s[0:1], 0x10
	s_and_saveexec_b64 s[0:1], vcc
	s_cbranch_execz .LBB0_2
; %bb.1:
	v_mov_b32_e32 v1, 0x45000000
	s_waitcnt lgkmcnt(0)
	v_mul_f32_e32 v1, s10, v1
	v_mul_f32_e32 v1, 0x3fb8aa3b, v1
	v_exp_f32_e32 v1, v1
	v_mov_b32_e32 v2, s9
	v_fma_f32 v1, s8, v1, -v2
	v_max_f32_e32 v1, 0, v1
	v_mov_b32_e32 v2, 0
	ds_write_b32 v2, v1 offset:512
.LBB0_2:
	s_or_b64 exec, exec, s[0:1]
	v_lshlrev_b32_e32 v1, 5, v0
	v_add_u32_e32 v2, 0xfffff800, v1
	v_cvt_f32_i32_e32 v2, v2
	v_add_u32_e32 v3, 0xfffff802, v1
	v_cvt_f32_i32_e32 v3, v3
	v_add_u32_e32 v7, 0xfffff806, v1
	s_waitcnt lgkmcnt(0)
	v_mul_f32_e32 v2, s10, v2
	v_mul_f32_e32 v2, 0x3fb8aa3b, v2
	v_exp_f32_e32 v4, v2
	v_mul_f32_e32 v2, s10, v3
	v_mul_f32_e32 v2, 0x3fb8aa3b, v2
	v_exp_f32_e32 v5, v2
	v_add_u32_e32 v2, 0xfffff804, v1
	v_cvt_f32_i32_e32 v6, v2
	v_cvt_f32_i32_e32 v7, v7
	s_mov_b32 s0, s9
	v_mov_b64_e32 v[2:3], s[0:1]
	v_mul_f32_e32 v6, s10, v6
	v_mul_f32_e32 v7, s10, v7
	;; [unrolled: 1-line block ×4, first 2 shown]
	v_exp_f32_e32 v6, v6
	v_exp_f32_e32 v7, v7
	v_pk_fma_f32 v[4:5], s[8:9], v[4:5], v[2:3] op_sel_hi:[0,1,0] neg_lo:[0,0,1] neg_hi:[0,0,1]
	v_max_f32_e32 v32, 0, v4
	v_max_f32_e32 v33, 0, v5
	v_pk_fma_f32 v[4:5], s[8:9], v[6:7], v[2:3] op_sel_hi:[0,1,0] neg_lo:[0,0,1] neg_hi:[0,0,1]
	v_max_f32_e32 v34, 0, v4
	v_add_u32_e32 v4, 0xfffff808, v1
	v_max_f32_e32 v35, 0, v5
	v_add_u32_e32 v5, 0xfffff80a, v1
	v_cvt_f32_i32_e32 v4, v4
	v_cvt_f32_i32_e32 v5, v5
	v_add_u32_e32 v6, 0xfffff80c, v1
	v_add_u32_e32 v7, 0xfffff80e, v1
	v_cvt_f32_i32_e32 v6, v6
	v_cvt_f32_i32_e32 v7, v7
	v_mul_f32_e32 v4, s10, v4
	v_mul_f32_e32 v5, s10, v5
	;; [unrolled: 1-line block ×6, first 2 shown]
	v_exp_f32_e32 v4, v4
	v_exp_f32_e32 v5, v5
	v_mul_f32_e32 v6, 0x3fb8aa3b, v6
	v_mul_f32_e32 v7, 0x3fb8aa3b, v7
	v_exp_f32_e32 v6, v6
	v_exp_f32_e32 v7, v7
	v_pk_fma_f32 v[4:5], s[8:9], v[4:5], v[2:3] op_sel_hi:[0,1,0] neg_lo:[0,0,1] neg_hi:[0,0,1]
	v_max_f32_e32 v36, 0, v4
	v_max_f32_e32 v37, 0, v5
	v_pk_fma_f32 v[4:5], s[8:9], v[6:7], v[2:3] op_sel_hi:[0,1,0] neg_lo:[0,0,1] neg_hi:[0,0,1]
	v_max_f32_e32 v38, 0, v4
	v_add_u32_e32 v4, 0xfffff810, v1
	v_max_f32_e32 v39, 0, v5
	v_add_u32_e32 v5, 0xfffff812, v1
	v_cvt_f32_i32_e32 v4, v4
	v_cvt_f32_i32_e32 v5, v5
	v_add_u32_e32 v6, 0xfffff814, v1
	v_add_u32_e32 v7, 0xfffff816, v1
	v_cvt_f32_i32_e32 v6, v6
	v_cvt_f32_i32_e32 v7, v7
	v_mul_f32_e32 v4, s10, v4
	v_mul_f32_e32 v5, s10, v5
	;; [unrolled: 1-line block ×6, first 2 shown]
	v_exp_f32_e32 v4, v4
	v_exp_f32_e32 v5, v5
	v_mul_f32_e32 v6, 0x3fb8aa3b, v6
	v_mul_f32_e32 v7, 0x3fb8aa3b, v7
	v_exp_f32_e32 v6, v6
	v_exp_f32_e32 v7, v7
	v_pk_fma_f32 v[4:5], s[8:9], v[4:5], v[2:3] op_sel_hi:[0,1,0] neg_lo:[0,0,1] neg_hi:[0,0,1]
	v_max_f32_e32 v40, 0, v4
	v_max_f32_e32 v41, 0, v5
	v_pk_fma_f32 v[4:5], s[8:9], v[6:7], v[2:3] op_sel_hi:[0,1,0] neg_lo:[0,0,1] neg_hi:[0,0,1]
	v_max_f32_e32 v42, 0, v4
	v_add_u32_e32 v4, 0xfffff818, v1
	v_max_f32_e32 v43, 0, v5
	v_add_u32_e32 v5, 0xfffff81a, v1
	v_add_u32_e32 v6, 0xfffff81c, v1
	v_add_u32_e32 v1, 0xfffff81e, v1
	v_cvt_f32_i32_e32 v4, v4
	v_cvt_f32_i32_e32 v5, v5
	;; [unrolled: 1-line block ×4, first 2 shown]
	v_mul_f32_e32 v4, s10, v4
	v_mul_f32_e32 v5, s10, v5
	;; [unrolled: 1-line block ×8, first 2 shown]
	v_exp_f32_e32 v4, v4
	v_exp_f32_e32 v5, v5
	;; [unrolled: 1-line block ×4, first 2 shown]
	s_mov_b32 s4, s11
	v_pk_fma_f32 v[4:5], s[8:9], v[4:5], v[2:3] op_sel_hi:[0,1,0] neg_lo:[0,0,1] neg_hi:[0,0,1]
	v_lshlrev_b32_e32 v50, 4, v0
	v_pk_fma_f32 v[2:3], s[8:9], v[6:7], v[2:3] op_sel_hi:[0,1,0] neg_lo:[0,0,1] neg_hi:[0,0,1]
	v_max_f32_e32 v44, 0, v4
	v_max_f32_e32 v45, 0, v5
	;; [unrolled: 1-line block ×4, first 2 shown]
	v_lshlrev_b32_e32 v51, 2, v0
	s_mov_b32 s8, s5
	s_mov_b32 s9, s5
	;; [unrolled: 1-line block ×3, first 2 shown]
	s_movk_i32 s14, 0x800
	s_branch .LBB0_4
.LBB0_3:                                ;   in Loop: Header=BB0_4 Depth=1
	s_or_b64 exec, exec, s[12:13]
	s_add_i32 s14, s15, -1
	s_cmp_eq_u32 s15, 1
	s_cbranch_scc1 .LBB0_36
.LBB0_4:                                ; =>This Inner Loop Header: Depth=1
	ds_write_b32 v51, v32
	s_waitcnt lgkmcnt(0)
	s_barrier
	ds_read_b32 v48, v51 offset:4
	s_waitcnt lgkmcnt(0)
	v_mov_b64_e32 v[0:1], v[32:33]
	v_cmp_ge_u32_e64 s[0:1], s14, v50
	v_mov_b64_e32 v[2:3], v[34:35]
	v_mov_b64_e32 v[4:5], v[36:37]
	;; [unrolled: 1-line block ×7, first 2 shown]
	s_barrier
	v_mov_b64_e32 v[16:17], v[48:49]
	v_mov_b64_e32 v[18:19], v[50:51]
	;; [unrolled: 1-line block ×8, first 2 shown]
	s_and_saveexec_b64 s[12:13], s[0:1]
	s_cbranch_execz .LBB0_6
; %bb.5:                                ;   in Loop: Header=BB0_4 Depth=1
	v_mov_b32_e32 v2, v33
	v_mov_b32_e32 v3, v34
	;; [unrolled: 1-line block ×10, first 2 shown]
	v_pk_mul_f32 v[2:3], s[10:11], v[2:3]
	v_pk_mul_f32 v[4:5], s[10:11], v[4:5]
	v_mov_b32_e32 v8, v37
	v_mov_b32_e32 v9, v38
	;; [unrolled: 1-line block ×5, first 2 shown]
	v_pk_fma_f32 v[0:1], s[8:9], v[0:1], v[2:3]
	v_pk_fma_f32 v[2:3], s[8:9], v[6:7], v[4:5]
	v_pk_mul_f32 v[6:7], s[10:11], v[12:13]
	v_mov_b32_e32 v10, v36
	v_mov_b32_e32 v11, v37
	;; [unrolled: 1-line block ×8, first 2 shown]
	v_pk_mul_f32 v[4:5], s[10:11], v[8:9]
	v_pk_fma_f32 v[6:7], s[8:9], v[14:15], v[6:7]
	v_pk_mul_f32 v[14:15], s[4:5], v[48:49]
	v_mov_b32_e32 v18, v40
	v_mov_b32_e32 v19, v41
	;; [unrolled: 1-line block ×6, first 2 shown]
	v_mul_f32_e32 v28, s11, v47
	v_mul_f32_e32 v30, s5, v46
	v_pk_fma_f32 v[4:5], s[8:9], v[10:11], v[4:5]
	v_pk_mul_f32 v[8:9], s[10:11], v[16:17]
	v_pk_mul_f32 v[10:11], s[10:11], v[20:21]
	;; [unrolled: 1-line block ×3, first 2 shown]
	v_mov_b32_e32 v31, v15
	v_mov_b32_e32 v29, v14
	v_pk_fma_f32 v[8:9], s[8:9], v[18:19], v[8:9]
	v_pk_fma_f32 v[10:11], s[8:9], v[22:23], v[10:11]
	;; [unrolled: 1-line block ×3, first 2 shown]
	v_pk_add_f32 v[14:15], v[30:31], v[28:29]
	v_mov_b32_e32 v32, v0
	v_mov_b32_e32 v33, v1
	;; [unrolled: 1-line block ×16, first 2 shown]
.LBB0_6:                                ;   in Loop: Header=BB0_4 Depth=1
	s_or_b64 exec, exec, s[12:13]
	ds_write_b32 v51, v32
	s_waitcnt lgkmcnt(0)
	s_barrier
	ds_read_b32 v16, v51 offset:4
	s_add_i32 s14, s14, -1
	v_cmp_ge_u32_e64 s[0:1], s14, v50
	s_waitcnt lgkmcnt(0)
	s_barrier
	s_and_saveexec_b64 s[12:13], s[0:1]
	s_cbranch_execz .LBB0_8
; %bb.7:                                ;   in Loop: Header=BB0_4 Depth=1
	v_mov_b32_e32 v22, v1
	v_mov_b32_e32 v23, v2
	v_pk_mul_f32 v[22:23], s[10:11], v[22:23]
	v_mov_b32_e32 v17, v15
	v_pk_fma_f32 v[0:1], s[8:9], v[0:1], v[22:23]
	v_mov_b32_e32 v22, v3
	v_mov_b32_e32 v23, v4
	v_pk_mul_f32 v[22:23], s[10:11], v[22:23]
	v_mul_f32_e32 v18, s11, v47
	v_pk_fma_f32 v[2:3], s[8:9], v[2:3], v[22:23]
	v_mov_b32_e32 v22, v5
	v_mov_b32_e32 v23, v6
	v_pk_mul_f32 v[22:23], s[10:11], v[22:23]
	v_mul_f32_e32 v20, s5, v46
	v_pk_fma_f32 v[4:5], s[8:9], v[4:5], v[22:23]
	v_mov_b32_e32 v22, v7
	v_mov_b32_e32 v23, v8
	v_pk_mul_f32 v[22:23], s[10:11], v[22:23]
	v_mov_b32_e32 v32, v0
	v_pk_fma_f32 v[6:7], s[8:9], v[6:7], v[22:23]
	v_mov_b32_e32 v22, v9
	v_mov_b32_e32 v23, v10
	v_pk_mul_f32 v[22:23], s[10:11], v[22:23]
	v_mov_b32_e32 v33, v1
	;; [unrolled: 5-line block ×3, first 2 shown]
	v_pk_fma_f32 v[10:11], s[8:9], v[10:11], v[22:23]
	v_mov_b32_e32 v22, v13
	v_mov_b32_e32 v23, v14
	v_pk_mul_f32 v[14:15], s[4:5], v[16:17]
	v_pk_mul_f32 v[22:23], s[10:11], v[22:23]
	v_mov_b32_e32 v21, v15
	v_mov_b32_e32 v19, v14
	v_pk_fma_f32 v[12:13], s[8:9], v[12:13], v[22:23]
	v_pk_add_f32 v[14:15], v[20:21], v[18:19]
	v_mov_b32_e32 v35, v3
	v_mov_b32_e32 v36, v4
	;; [unrolled: 1-line block ×13, first 2 shown]
.LBB0_8:                                ;   in Loop: Header=BB0_4 Depth=1
	s_or_b64 exec, exec, s[12:13]
	ds_write_b32 v51, v32
	s_waitcnt lgkmcnt(0)
	s_barrier
	ds_read_b32 v16, v51 offset:4
	s_add_i32 s14, s14, -1
	v_cmp_ge_u32_e64 s[0:1], s14, v50
	s_waitcnt lgkmcnt(0)
	s_barrier
	s_and_saveexec_b64 s[12:13], s[0:1]
	s_cbranch_execz .LBB0_10
; %bb.9:                                ;   in Loop: Header=BB0_4 Depth=1
	v_mov_b32_e32 v22, v1
	v_mov_b32_e32 v23, v2
	v_pk_mul_f32 v[22:23], s[10:11], v[22:23]
	v_mov_b32_e32 v17, v15
	v_pk_fma_f32 v[0:1], s[8:9], v[0:1], v[22:23]
	v_mov_b32_e32 v22, v3
	v_mov_b32_e32 v23, v4
	v_pk_mul_f32 v[22:23], s[10:11], v[22:23]
	v_mul_f32_e32 v18, s11, v47
	v_pk_fma_f32 v[2:3], s[8:9], v[2:3], v[22:23]
	v_mov_b32_e32 v22, v5
	v_mov_b32_e32 v23, v6
	v_pk_mul_f32 v[22:23], s[10:11], v[22:23]
	v_mul_f32_e32 v20, s5, v46
	v_pk_fma_f32 v[4:5], s[8:9], v[4:5], v[22:23]
	v_mov_b32_e32 v22, v7
	v_mov_b32_e32 v23, v8
	v_pk_mul_f32 v[22:23], s[10:11], v[22:23]
	v_mov_b32_e32 v32, v0
	v_pk_fma_f32 v[6:7], s[8:9], v[6:7], v[22:23]
	v_mov_b32_e32 v22, v9
	v_mov_b32_e32 v23, v10
	v_pk_mul_f32 v[22:23], s[10:11], v[22:23]
	v_mov_b32_e32 v33, v1
	;; [unrolled: 5-line block ×3, first 2 shown]
	v_pk_fma_f32 v[10:11], s[8:9], v[10:11], v[22:23]
	v_mov_b32_e32 v22, v13
	v_mov_b32_e32 v23, v14
	v_pk_mul_f32 v[14:15], s[4:5], v[16:17]
	v_pk_mul_f32 v[22:23], s[10:11], v[22:23]
	v_mov_b32_e32 v21, v15
	v_mov_b32_e32 v19, v14
	v_pk_fma_f32 v[12:13], s[8:9], v[12:13], v[22:23]
	v_pk_add_f32 v[14:15], v[20:21], v[18:19]
	v_mov_b32_e32 v35, v3
	v_mov_b32_e32 v36, v4
	;; [unrolled: 1-line block ×13, first 2 shown]
.LBB0_10:                               ;   in Loop: Header=BB0_4 Depth=1
	s_or_b64 exec, exec, s[12:13]
	ds_write_b32 v51, v32
	s_waitcnt lgkmcnt(0)
	s_barrier
	ds_read_b32 v16, v51 offset:4
	s_add_i32 s14, s14, -1
	v_cmp_ge_u32_e64 s[0:1], s14, v50
	s_waitcnt lgkmcnt(0)
	s_barrier
	s_and_saveexec_b64 s[12:13], s[0:1]
	s_cbranch_execz .LBB0_12
; %bb.11:                               ;   in Loop: Header=BB0_4 Depth=1
	v_mov_b32_e32 v22, v1
	v_mov_b32_e32 v23, v2
	v_pk_mul_f32 v[22:23], s[10:11], v[22:23]
	v_mov_b32_e32 v17, v15
	v_pk_fma_f32 v[0:1], s[8:9], v[0:1], v[22:23]
	v_mov_b32_e32 v22, v3
	v_mov_b32_e32 v23, v4
	v_pk_mul_f32 v[22:23], s[10:11], v[22:23]
	v_mul_f32_e32 v18, s11, v47
	v_pk_fma_f32 v[2:3], s[8:9], v[2:3], v[22:23]
	v_mov_b32_e32 v22, v5
	v_mov_b32_e32 v23, v6
	v_pk_mul_f32 v[22:23], s[10:11], v[22:23]
	v_mul_f32_e32 v20, s5, v46
	v_pk_fma_f32 v[4:5], s[8:9], v[4:5], v[22:23]
	v_mov_b32_e32 v22, v7
	v_mov_b32_e32 v23, v8
	v_pk_mul_f32 v[22:23], s[10:11], v[22:23]
	v_mov_b32_e32 v32, v0
	v_pk_fma_f32 v[6:7], s[8:9], v[6:7], v[22:23]
	v_mov_b32_e32 v22, v9
	v_mov_b32_e32 v23, v10
	v_pk_mul_f32 v[22:23], s[10:11], v[22:23]
	v_mov_b32_e32 v33, v1
	v_pk_fma_f32 v[8:9], s[8:9], v[8:9], v[22:23]
	v_mov_b32_e32 v22, v11
	v_mov_b32_e32 v23, v12
	v_pk_mul_f32 v[22:23], s[10:11], v[22:23]
	v_mov_b32_e32 v34, v2
	v_pk_fma_f32 v[10:11], s[8:9], v[10:11], v[22:23]
	v_mov_b32_e32 v22, v13
	v_mov_b32_e32 v23, v14
	v_pk_mul_f32 v[14:15], s[4:5], v[16:17]
	v_pk_mul_f32 v[22:23], s[10:11], v[22:23]
	v_mov_b32_e32 v21, v15
	v_mov_b32_e32 v19, v14
	v_pk_fma_f32 v[12:13], s[8:9], v[12:13], v[22:23]
	v_pk_add_f32 v[14:15], v[20:21], v[18:19]
	v_mov_b32_e32 v35, v3
	v_mov_b32_e32 v36, v4
	v_mov_b32_e32 v37, v5
	v_mov_b32_e32 v38, v6
	v_mov_b32_e32 v39, v7
	v_mov_b32_e32 v40, v8
	v_mov_b32_e32 v41, v9
	v_mov_b32_e32 v42, v10
	v_mov_b32_e32 v43, v11
	v_mov_b32_e32 v44, v12
	v_mov_b32_e32 v45, v13
	v_mov_b32_e32 v46, v14
	v_mov_b32_e32 v47, v15
.LBB0_12:                               ;   in Loop: Header=BB0_4 Depth=1
	s_or_b64 exec, exec, s[12:13]
	ds_write_b32 v51, v32
	s_waitcnt lgkmcnt(0)
	s_barrier
	ds_read_b32 v16, v51 offset:4
	s_add_i32 s14, s14, -1
	v_cmp_ge_u32_e64 s[0:1], s14, v50
	s_waitcnt lgkmcnt(0)
	s_barrier
	s_and_saveexec_b64 s[12:13], s[0:1]
	s_cbranch_execz .LBB0_14
; %bb.13:                               ;   in Loop: Header=BB0_4 Depth=1
	v_mov_b32_e32 v22, v1
	v_mov_b32_e32 v23, v2
	v_pk_mul_f32 v[22:23], s[10:11], v[22:23]
	v_mov_b32_e32 v17, v15
	v_pk_fma_f32 v[0:1], s[8:9], v[0:1], v[22:23]
	v_mov_b32_e32 v22, v3
	v_mov_b32_e32 v23, v4
	v_pk_mul_f32 v[22:23], s[10:11], v[22:23]
	v_mul_f32_e32 v18, s11, v47
	v_pk_fma_f32 v[2:3], s[8:9], v[2:3], v[22:23]
	v_mov_b32_e32 v22, v5
	v_mov_b32_e32 v23, v6
	v_pk_mul_f32 v[22:23], s[10:11], v[22:23]
	v_mul_f32_e32 v20, s5, v46
	v_pk_fma_f32 v[4:5], s[8:9], v[4:5], v[22:23]
	v_mov_b32_e32 v22, v7
	v_mov_b32_e32 v23, v8
	v_pk_mul_f32 v[22:23], s[10:11], v[22:23]
	v_mov_b32_e32 v32, v0
	v_pk_fma_f32 v[6:7], s[8:9], v[6:7], v[22:23]
	v_mov_b32_e32 v22, v9
	v_mov_b32_e32 v23, v10
	v_pk_mul_f32 v[22:23], s[10:11], v[22:23]
	v_mov_b32_e32 v33, v1
	v_pk_fma_f32 v[8:9], s[8:9], v[8:9], v[22:23]
	v_mov_b32_e32 v22, v11
	v_mov_b32_e32 v23, v12
	v_pk_mul_f32 v[22:23], s[10:11], v[22:23]
	v_mov_b32_e32 v34, v2
	v_pk_fma_f32 v[10:11], s[8:9], v[10:11], v[22:23]
	v_mov_b32_e32 v22, v13
	v_mov_b32_e32 v23, v14
	v_pk_mul_f32 v[14:15], s[4:5], v[16:17]
	v_pk_mul_f32 v[22:23], s[10:11], v[22:23]
	v_mov_b32_e32 v21, v15
	v_mov_b32_e32 v19, v14
	v_pk_fma_f32 v[12:13], s[8:9], v[12:13], v[22:23]
	v_pk_add_f32 v[14:15], v[20:21], v[18:19]
	v_mov_b32_e32 v35, v3
	v_mov_b32_e32 v36, v4
	v_mov_b32_e32 v37, v5
	v_mov_b32_e32 v38, v6
	v_mov_b32_e32 v39, v7
	v_mov_b32_e32 v40, v8
	v_mov_b32_e32 v41, v9
	v_mov_b32_e32 v42, v10
	v_mov_b32_e32 v43, v11
	v_mov_b32_e32 v44, v12
	v_mov_b32_e32 v45, v13
	v_mov_b32_e32 v46, v14
	v_mov_b32_e32 v47, v15
.LBB0_14:                               ;   in Loop: Header=BB0_4 Depth=1
	;; [unrolled: 64-line block ×7, first 2 shown]
	s_or_b64 exec, exec, s[12:13]
	ds_write_b32 v51, v32
	s_waitcnt lgkmcnt(0)
	s_barrier
	ds_read_b32 v16, v51 offset:4
	s_add_i32 s14, s14, -1
	v_mov_b32_e32 v27, v42
	v_mov_b32_e32 v26, v41
	v_mov_b32_e32 v25, v40
	v_mov_b32_e32 v24, v39
	v_mov_b32_e32 v23, v38
	v_mov_b32_e32 v22, v37
	v_mov_b32_e32 v21, v36
	v_mov_b32_e32 v20, v35
	v_mov_b32_e32 v19, v34
	v_mov_b32_e32 v18, v33
	v_mov_b32_e32 v17, v32
	v_cmp_ge_u32_e64 s[0:1], s14, v50
	v_mov_b32_e32 v28, v43
	v_mov_b32_e32 v29, v44
	;; [unrolled: 1-line block ×3, first 2 shown]
	s_waitcnt lgkmcnt(0)
	s_barrier
	s_and_saveexec_b64 s[12:13], s[0:1]
	s_cbranch_execz .LBB0_26
; %bb.25:                               ;   in Loop: Header=BB0_4 Depth=1
	v_mov_b32_e32 v22, v1
	v_mov_b32_e32 v23, v2
	v_pk_mul_f32 v[22:23], s[10:11], v[22:23]
	v_mov_b32_e32 v17, v15
	v_pk_fma_f32 v[0:1], s[8:9], v[0:1], v[22:23]
	v_mov_b32_e32 v22, v3
	v_mov_b32_e32 v23, v4
	v_pk_mul_f32 v[22:23], s[10:11], v[22:23]
	v_mul_f32_e32 v18, s11, v47
	v_pk_fma_f32 v[2:3], s[8:9], v[2:3], v[22:23]
	v_mov_b32_e32 v22, v5
	v_mov_b32_e32 v23, v6
	v_pk_mul_f32 v[22:23], s[10:11], v[22:23]
	v_mul_f32_e32 v20, s5, v46
	v_pk_fma_f32 v[4:5], s[8:9], v[4:5], v[22:23]
	v_mov_b32_e32 v22, v7
	v_mov_b32_e32 v23, v8
	v_pk_mul_f32 v[22:23], s[10:11], v[22:23]
	s_nop 0
	v_pk_fma_f32 v[6:7], s[8:9], v[6:7], v[22:23]
	v_mov_b32_e32 v22, v9
	v_mov_b32_e32 v23, v10
	v_pk_mul_f32 v[22:23], s[10:11], v[22:23]
	v_mov_b32_e32 v24, v7
	v_pk_fma_f32 v[8:9], s[8:9], v[8:9], v[22:23]
	v_mov_b32_e32 v22, v11
	v_mov_b32_e32 v23, v12
	v_pk_mul_f32 v[22:23], s[10:11], v[22:23]
	v_mov_b32_e32 v25, v8
	v_pk_fma_f32 v[10:11], s[8:9], v[10:11], v[22:23]
	v_mov_b32_e32 v22, v13
	v_mov_b32_e32 v23, v14
	v_pk_mul_f32 v[14:15], s[4:5], v[16:17]
	v_pk_mul_f32 v[22:23], s[10:11], v[22:23]
	v_mov_b32_e32 v21, v15
	v_mov_b32_e32 v19, v14
	v_pk_fma_f32 v[12:13], s[8:9], v[12:13], v[22:23]
	v_pk_add_f32 v[14:15], v[20:21], v[18:19]
	v_mov_b32_e32 v17, v0
	v_mov_b32_e32 v46, v14
	;; [unrolled: 1-line block ×14, first 2 shown]
.LBB0_26:                               ;   in Loop: Header=BB0_4 Depth=1
	s_or_b64 exec, exec, s[12:13]
	ds_write_b32 v51, v17
	s_waitcnt lgkmcnt(0)
	s_barrier
	ds_read_b32 v16, v51 offset:4
	s_add_i32 s14, s14, -1
	v_cmp_ge_u32_e64 s[0:1], s14, v50
	s_waitcnt lgkmcnt(0)
	s_barrier
	s_and_saveexec_b64 s[12:13], s[0:1]
	s_cbranch_execz .LBB0_28
; %bb.27:                               ;   in Loop: Header=BB0_4 Depth=1
	v_mov_b32_e32 v22, v1
	v_mov_b32_e32 v23, v2
	v_pk_mul_f32 v[22:23], s[10:11], v[22:23]
	v_mov_b32_e32 v17, v15
	v_pk_fma_f32 v[0:1], s[8:9], v[0:1], v[22:23]
	v_mov_b32_e32 v22, v3
	v_mov_b32_e32 v23, v4
	v_pk_mul_f32 v[22:23], s[10:11], v[22:23]
	v_mul_f32_e32 v18, s11, v47
	v_pk_fma_f32 v[2:3], s[8:9], v[2:3], v[22:23]
	v_mov_b32_e32 v22, v5
	v_mov_b32_e32 v23, v6
	v_pk_mul_f32 v[22:23], s[10:11], v[22:23]
	v_mul_f32_e32 v20, s5, v46
	v_pk_fma_f32 v[4:5], s[8:9], v[4:5], v[22:23]
	v_mov_b32_e32 v22, v7
	v_mov_b32_e32 v23, v8
	v_pk_mul_f32 v[22:23], s[10:11], v[22:23]
	s_nop 0
	v_pk_fma_f32 v[6:7], s[8:9], v[6:7], v[22:23]
	v_mov_b32_e32 v22, v9
	v_mov_b32_e32 v23, v10
	v_pk_mul_f32 v[22:23], s[10:11], v[22:23]
	v_mov_b32_e32 v24, v7
	v_pk_fma_f32 v[8:9], s[8:9], v[8:9], v[22:23]
	v_mov_b32_e32 v22, v11
	v_mov_b32_e32 v23, v12
	v_pk_mul_f32 v[22:23], s[10:11], v[22:23]
	v_mov_b32_e32 v25, v8
	v_pk_fma_f32 v[10:11], s[8:9], v[10:11], v[22:23]
	v_mov_b32_e32 v22, v13
	v_mov_b32_e32 v23, v14
	v_pk_mul_f32 v[14:15], s[4:5], v[16:17]
	v_pk_mul_f32 v[22:23], s[10:11], v[22:23]
	v_mov_b32_e32 v21, v15
	v_mov_b32_e32 v19, v14
	v_pk_fma_f32 v[12:13], s[8:9], v[12:13], v[22:23]
	v_pk_add_f32 v[14:15], v[20:21], v[18:19]
	v_mov_b32_e32 v17, v0
	v_mov_b32_e32 v46, v14
	v_mov_b32_e32 v47, v15
	v_mov_b32_e32 v18, v1
	v_mov_b32_e32 v19, v2
	v_mov_b32_e32 v20, v3
	v_mov_b32_e32 v21, v4
	v_mov_b32_e32 v22, v5
	v_mov_b32_e32 v23, v6
	v_mov_b32_e32 v26, v9
	v_mov_b32_e32 v27, v10
	v_mov_b32_e32 v28, v11
	v_mov_b32_e32 v29, v12
	v_mov_b32_e32 v30, v13
.LBB0_28:                               ;   in Loop: Header=BB0_4 Depth=1
	s_or_b64 exec, exec, s[12:13]
	ds_write_b32 v51, v17
	s_waitcnt lgkmcnt(0)
	s_barrier
	ds_read_b32 v16, v51 offset:4
	s_add_i32 s14, s14, -1
	v_cmp_ge_u32_e64 s[0:1], s14, v50
	s_waitcnt lgkmcnt(0)
	s_barrier
	s_and_saveexec_b64 s[12:13], s[0:1]
	s_cbranch_execz .LBB0_30
; %bb.29:                               ;   in Loop: Header=BB0_4 Depth=1
	v_mov_b32_e32 v22, v1
	v_mov_b32_e32 v23, v2
	v_pk_mul_f32 v[22:23], s[10:11], v[22:23]
	v_mov_b32_e32 v17, v15
	v_pk_fma_f32 v[0:1], s[8:9], v[0:1], v[22:23]
	v_mov_b32_e32 v22, v3
	v_mov_b32_e32 v23, v4
	v_pk_mul_f32 v[22:23], s[10:11], v[22:23]
	v_mul_f32_e32 v18, s11, v47
	v_pk_fma_f32 v[2:3], s[8:9], v[2:3], v[22:23]
	v_mov_b32_e32 v22, v5
	v_mov_b32_e32 v23, v6
	v_pk_mul_f32 v[22:23], s[10:11], v[22:23]
	v_mul_f32_e32 v20, s5, v46
	v_pk_fma_f32 v[4:5], s[8:9], v[4:5], v[22:23]
	v_mov_b32_e32 v22, v7
	v_mov_b32_e32 v23, v8
	v_pk_mul_f32 v[22:23], s[10:11], v[22:23]
	s_nop 0
	v_pk_fma_f32 v[6:7], s[8:9], v[6:7], v[22:23]
	v_mov_b32_e32 v22, v9
	v_mov_b32_e32 v23, v10
	v_pk_mul_f32 v[22:23], s[10:11], v[22:23]
	v_mov_b32_e32 v24, v7
	v_pk_fma_f32 v[8:9], s[8:9], v[8:9], v[22:23]
	v_mov_b32_e32 v22, v11
	v_mov_b32_e32 v23, v12
	v_pk_mul_f32 v[22:23], s[10:11], v[22:23]
	v_mov_b32_e32 v25, v8
	v_pk_fma_f32 v[10:11], s[8:9], v[10:11], v[22:23]
	v_mov_b32_e32 v22, v13
	v_mov_b32_e32 v23, v14
	v_pk_mul_f32 v[14:15], s[4:5], v[16:17]
	v_pk_mul_f32 v[22:23], s[10:11], v[22:23]
	v_mov_b32_e32 v21, v15
	v_mov_b32_e32 v19, v14
	v_pk_fma_f32 v[12:13], s[8:9], v[12:13], v[22:23]
	v_pk_add_f32 v[14:15], v[20:21], v[18:19]
	v_mov_b32_e32 v17, v0
	v_mov_b32_e32 v46, v14
	;; [unrolled: 1-line block ×14, first 2 shown]
.LBB0_30:                               ;   in Loop: Header=BB0_4 Depth=1
	s_or_b64 exec, exec, s[12:13]
	ds_write_b32 v51, v17
	s_waitcnt lgkmcnt(0)
	s_barrier
	ds_read_b32 v16, v51 offset:4
	s_add_i32 s14, s14, -1
	v_cmp_ge_u32_e64 s[0:1], s14, v50
	s_waitcnt lgkmcnt(0)
	s_barrier
	s_and_saveexec_b64 s[12:13], s[0:1]
	s_cbranch_execz .LBB0_32
; %bb.31:                               ;   in Loop: Header=BB0_4 Depth=1
	v_mov_b32_e32 v22, v1
	v_mov_b32_e32 v23, v2
	v_pk_mul_f32 v[22:23], s[10:11], v[22:23]
	v_mov_b32_e32 v17, v15
	v_pk_fma_f32 v[0:1], s[8:9], v[0:1], v[22:23]
	v_mov_b32_e32 v22, v3
	v_mov_b32_e32 v23, v4
	v_pk_mul_f32 v[22:23], s[10:11], v[22:23]
	v_mul_f32_e32 v18, s11, v47
	v_pk_fma_f32 v[2:3], s[8:9], v[2:3], v[22:23]
	v_mov_b32_e32 v22, v5
	v_mov_b32_e32 v23, v6
	v_pk_mul_f32 v[22:23], s[10:11], v[22:23]
	v_mul_f32_e32 v20, s5, v46
	v_pk_fma_f32 v[4:5], s[8:9], v[4:5], v[22:23]
	v_mov_b32_e32 v22, v7
	v_mov_b32_e32 v23, v8
	v_pk_mul_f32 v[22:23], s[10:11], v[22:23]
	s_nop 0
	v_pk_fma_f32 v[6:7], s[8:9], v[6:7], v[22:23]
	v_mov_b32_e32 v22, v9
	v_mov_b32_e32 v23, v10
	v_pk_mul_f32 v[22:23], s[10:11], v[22:23]
	v_mov_b32_e32 v24, v7
	v_pk_fma_f32 v[8:9], s[8:9], v[8:9], v[22:23]
	v_mov_b32_e32 v22, v11
	v_mov_b32_e32 v23, v12
	v_pk_mul_f32 v[22:23], s[10:11], v[22:23]
	v_mov_b32_e32 v25, v8
	v_pk_fma_f32 v[10:11], s[8:9], v[10:11], v[22:23]
	v_mov_b32_e32 v22, v13
	v_mov_b32_e32 v23, v14
	v_pk_mul_f32 v[14:15], s[4:5], v[16:17]
	v_pk_mul_f32 v[22:23], s[10:11], v[22:23]
	v_mov_b32_e32 v21, v15
	v_mov_b32_e32 v19, v14
	v_pk_fma_f32 v[12:13], s[8:9], v[12:13], v[22:23]
	v_pk_add_f32 v[14:15], v[20:21], v[18:19]
	v_mov_b32_e32 v17, v0
	v_mov_b32_e32 v46, v14
	v_mov_b32_e32 v47, v15
	v_mov_b32_e32 v18, v1
	v_mov_b32_e32 v19, v2
	v_mov_b32_e32 v20, v3
	v_mov_b32_e32 v21, v4
	v_mov_b32_e32 v22, v5
	v_mov_b32_e32 v23, v6
	v_mov_b32_e32 v26, v9
	v_mov_b32_e32 v27, v10
	v_mov_b32_e32 v28, v11
	v_mov_b32_e32 v29, v12
	v_mov_b32_e32 v30, v13
.LBB0_32:                               ;   in Loop: Header=BB0_4 Depth=1
	s_or_b64 exec, exec, s[12:13]
	ds_write_b32 v51, v17
	s_waitcnt lgkmcnt(0)
	s_barrier
	ds_read_b32 v16, v51 offset:4
	s_add_i32 s14, s14, -1
	v_cmp_ge_u32_e64 s[0:1], s14, v50
	s_waitcnt lgkmcnt(0)
	s_barrier
	s_and_saveexec_b64 s[12:13], s[0:1]
	s_cbranch_execz .LBB0_34
; %bb.33:                               ;   in Loop: Header=BB0_4 Depth=1
	v_mov_b32_e32 v22, v1
	v_mov_b32_e32 v23, v2
	v_pk_mul_f32 v[22:23], s[10:11], v[22:23]
	v_mov_b32_e32 v17, v15
	v_pk_fma_f32 v[0:1], s[8:9], v[0:1], v[22:23]
	v_mov_b32_e32 v22, v3
	v_mov_b32_e32 v23, v4
	v_pk_mul_f32 v[22:23], s[10:11], v[22:23]
	v_mul_f32_e32 v18, s11, v47
	v_pk_fma_f32 v[2:3], s[8:9], v[2:3], v[22:23]
	v_mov_b32_e32 v22, v5
	v_mov_b32_e32 v23, v6
	v_pk_mul_f32 v[22:23], s[10:11], v[22:23]
	v_mul_f32_e32 v20, s5, v46
	v_pk_fma_f32 v[4:5], s[8:9], v[4:5], v[22:23]
	v_mov_b32_e32 v22, v7
	v_mov_b32_e32 v23, v8
	v_pk_mul_f32 v[22:23], s[10:11], v[22:23]
	s_nop 0
	v_pk_fma_f32 v[6:7], s[8:9], v[6:7], v[22:23]
	v_mov_b32_e32 v22, v9
	v_mov_b32_e32 v23, v10
	v_pk_mul_f32 v[22:23], s[10:11], v[22:23]
	v_mov_b32_e32 v24, v7
	v_pk_fma_f32 v[8:9], s[8:9], v[8:9], v[22:23]
	v_mov_b32_e32 v22, v11
	v_mov_b32_e32 v23, v12
	v_pk_mul_f32 v[22:23], s[10:11], v[22:23]
	v_mov_b32_e32 v25, v8
	v_pk_fma_f32 v[10:11], s[8:9], v[10:11], v[22:23]
	v_mov_b32_e32 v22, v13
	v_mov_b32_e32 v23, v14
	v_pk_mul_f32 v[14:15], s[4:5], v[16:17]
	v_pk_mul_f32 v[22:23], s[10:11], v[22:23]
	v_mov_b32_e32 v21, v15
	v_mov_b32_e32 v19, v14
	v_pk_fma_f32 v[12:13], s[8:9], v[12:13], v[22:23]
	v_pk_add_f32 v[14:15], v[20:21], v[18:19]
	v_mov_b32_e32 v17, v0
	v_mov_b32_e32 v46, v14
	;; [unrolled: 1-line block ×14, first 2 shown]
.LBB0_34:                               ;   in Loop: Header=BB0_4 Depth=1
	s_or_b64 exec, exec, s[12:13]
	ds_write_b32 v51, v17
	s_waitcnt lgkmcnt(0)
	s_barrier
	ds_read_b32 v16, v51 offset:4
	s_add_i32 s15, s14, -1
	v_cmp_ge_u32_e64 s[0:1], s15, v50
	v_mov_b32_e32 v32, v17
	v_mov_b32_e32 v33, v18
	;; [unrolled: 1-line block ×14, first 2 shown]
	s_waitcnt lgkmcnt(0)
	s_barrier
	s_and_saveexec_b64 s[12:13], s[0:1]
	s_cbranch_execz .LBB0_3
; %bb.35:                               ;   in Loop: Header=BB0_4 Depth=1
	v_mov_b32_e32 v22, v1
	v_mov_b32_e32 v23, v2
	v_pk_mul_f32 v[22:23], s[10:11], v[22:23]
	v_mov_b32_e32 v17, v15
	v_pk_fma_f32 v[0:1], s[8:9], v[0:1], v[22:23]
	v_mov_b32_e32 v22, v3
	v_mov_b32_e32 v23, v4
	v_pk_mul_f32 v[22:23], s[10:11], v[22:23]
	v_mul_f32_e32 v18, s11, v47
	v_pk_fma_f32 v[2:3], s[8:9], v[2:3], v[22:23]
	v_mov_b32_e32 v22, v5
	v_mov_b32_e32 v23, v6
	v_pk_mul_f32 v[22:23], s[10:11], v[22:23]
	v_mul_f32_e32 v20, s5, v46
	v_pk_fma_f32 v[4:5], s[8:9], v[4:5], v[22:23]
	v_mov_b32_e32 v22, v7
	v_mov_b32_e32 v23, v8
	v_pk_mul_f32 v[22:23], s[10:11], v[22:23]
	v_mov_b32_e32 v32, v0
	v_pk_fma_f32 v[6:7], s[8:9], v[6:7], v[22:23]
	v_mov_b32_e32 v22, v9
	v_mov_b32_e32 v23, v10
	v_pk_mul_f32 v[22:23], s[10:11], v[22:23]
	v_mov_b32_e32 v33, v1
	;; [unrolled: 5-line block ×3, first 2 shown]
	v_pk_fma_f32 v[10:11], s[8:9], v[10:11], v[22:23]
	v_mov_b32_e32 v22, v13
	v_mov_b32_e32 v23, v14
	v_pk_mul_f32 v[14:15], s[4:5], v[16:17]
	v_pk_mul_f32 v[22:23], s[10:11], v[22:23]
	v_mov_b32_e32 v21, v15
	v_mov_b32_e32 v19, v14
	v_pk_fma_f32 v[12:13], s[8:9], v[12:13], v[22:23]
	v_pk_add_f32 v[14:15], v[20:21], v[18:19]
	v_mov_b32_e32 v35, v3
	v_mov_b32_e32 v36, v4
	;; [unrolled: 1-line block ×13, first 2 shown]
	s_branch .LBB0_3
.LBB0_36:
	s_and_saveexec_b64 s[0:1], vcc
	s_cbranch_execz .LBB0_38
; %bb.37:
	s_lshl_b64 s[0:1], s[2:3], 2
	s_add_u32 s0, s6, s0
	s_addc_u32 s1, s7, s1
	v_mov_b32_e32 v0, 0
	global_store_dword v0, v32, s[0:1]
.LBB0_38:
	s_endpgm
	.section	.rodata,"a",@progbits
	.p2align	6, 0x0
	.amdhsa_kernel _Z21binomialOptionsKernelPK13__TOptionDataPf
		.amdhsa_group_segment_fixed_size 516
		.amdhsa_private_segment_fixed_size 0
		.amdhsa_kernarg_size 16
		.amdhsa_user_sgpr_count 2
		.amdhsa_user_sgpr_dispatch_ptr 0
		.amdhsa_user_sgpr_queue_ptr 0
		.amdhsa_user_sgpr_kernarg_segment_ptr 1
		.amdhsa_user_sgpr_dispatch_id 0
		.amdhsa_user_sgpr_kernarg_preload_length 0
		.amdhsa_user_sgpr_kernarg_preload_offset 0
		.amdhsa_user_sgpr_private_segment_size 0
		.amdhsa_uses_dynamic_stack 0
		.amdhsa_enable_private_segment 0
		.amdhsa_system_sgpr_workgroup_id_x 1
		.amdhsa_system_sgpr_workgroup_id_y 0
		.amdhsa_system_sgpr_workgroup_id_z 0
		.amdhsa_system_sgpr_workgroup_info 0
		.amdhsa_system_vgpr_workitem_id 0
		.amdhsa_next_free_vgpr 64
		.amdhsa_next_free_sgpr 16
		.amdhsa_accum_offset 64
		.amdhsa_reserve_vcc 1
		.amdhsa_float_round_mode_32 0
		.amdhsa_float_round_mode_16_64 0
		.amdhsa_float_denorm_mode_32 3
		.amdhsa_float_denorm_mode_16_64 3
		.amdhsa_dx10_clamp 1
		.amdhsa_ieee_mode 1
		.amdhsa_fp16_overflow 0
		.amdhsa_tg_split 0
		.amdhsa_exception_fp_ieee_invalid_op 0
		.amdhsa_exception_fp_denorm_src 0
		.amdhsa_exception_fp_ieee_div_zero 0
		.amdhsa_exception_fp_ieee_overflow 0
		.amdhsa_exception_fp_ieee_underflow 0
		.amdhsa_exception_fp_ieee_inexact 0
		.amdhsa_exception_int_div_zero 0
	.end_amdhsa_kernel
	.text
.Lfunc_end0:
	.size	_Z21binomialOptionsKernelPK13__TOptionDataPf, .Lfunc_end0-_Z21binomialOptionsKernelPK13__TOptionDataPf
                                        ; -- End function
	.set _Z21binomialOptionsKernelPK13__TOptionDataPf.num_vgpr, 64
	.set _Z21binomialOptionsKernelPK13__TOptionDataPf.num_agpr, 0
	.set _Z21binomialOptionsKernelPK13__TOptionDataPf.numbered_sgpr, 16
	.set _Z21binomialOptionsKernelPK13__TOptionDataPf.num_named_barrier, 0
	.set _Z21binomialOptionsKernelPK13__TOptionDataPf.private_seg_size, 0
	.set _Z21binomialOptionsKernelPK13__TOptionDataPf.uses_vcc, 1
	.set _Z21binomialOptionsKernelPK13__TOptionDataPf.uses_flat_scratch, 0
	.set _Z21binomialOptionsKernelPK13__TOptionDataPf.has_dyn_sized_stack, 0
	.set _Z21binomialOptionsKernelPK13__TOptionDataPf.has_recursion, 0
	.set _Z21binomialOptionsKernelPK13__TOptionDataPf.has_indirect_call, 0
	.section	.AMDGPU.csdata,"",@progbits
; Kernel info:
; codeLenInByte = 6228
; TotalNumSgprs: 22
; NumVgprs: 64
; NumAgprs: 0
; TotalNumVgprs: 64
; ScratchSize: 0
; MemoryBound: 0
; FloatMode: 240
; IeeeMode: 1
; LDSByteSize: 516 bytes/workgroup (compile time only)
; SGPRBlocks: 2
; VGPRBlocks: 7
; NumSGPRsForWavesPerEU: 22
; NumVGPRsForWavesPerEU: 64
; AccumOffset: 64
; Occupancy: 8
; WaveLimiterHint : 0
; COMPUTE_PGM_RSRC2:SCRATCH_EN: 0
; COMPUTE_PGM_RSRC2:USER_SGPR: 2
; COMPUTE_PGM_RSRC2:TRAP_HANDLER: 0
; COMPUTE_PGM_RSRC2:TGID_X_EN: 1
; COMPUTE_PGM_RSRC2:TGID_Y_EN: 0
; COMPUTE_PGM_RSRC2:TGID_Z_EN: 0
; COMPUTE_PGM_RSRC2:TIDIG_COMP_CNT: 0
; COMPUTE_PGM_RSRC3_GFX90A:ACCUM_OFFSET: 15
; COMPUTE_PGM_RSRC3_GFX90A:TG_SPLIT: 0
	.text
	.p2alignl 6, 3212836864
	.fill 256, 4, 3212836864
	.section	.AMDGPU.gpr_maximums,"",@progbits
	.set amdgpu.max_num_vgpr, 0
	.set amdgpu.max_num_agpr, 0
	.set amdgpu.max_num_sgpr, 0
	.text
	.type	__hip_cuid_778fc684fe619dca,@object ; @__hip_cuid_778fc684fe619dca
	.section	.bss,"aw",@nobits
	.globl	__hip_cuid_778fc684fe619dca
__hip_cuid_778fc684fe619dca:
	.byte	0                               ; 0x0
	.size	__hip_cuid_778fc684fe619dca, 1

	.ident	"AMD clang version 22.0.0git (https://github.com/RadeonOpenCompute/llvm-project roc-7.2.4 26084 f58b06dce1f9c15707c5f808fd002e18c2accf7e)"
	.section	".note.GNU-stack","",@progbits
	.addrsig
	.addrsig_sym __hip_cuid_778fc684fe619dca
	.amdgpu_metadata
---
amdhsa.kernels:
  - .agpr_count:     0
    .args:
      - .actual_access:  read_only
        .address_space:  global
        .offset:         0
        .size:           8
        .value_kind:     global_buffer
      - .actual_access:  write_only
        .address_space:  global
        .offset:         8
        .size:           8
        .value_kind:     global_buffer
    .group_segment_fixed_size: 516
    .kernarg_segment_align: 8
    .kernarg_segment_size: 16
    .language:       OpenCL C
    .language_version:
      - 2
      - 0
    .max_flat_workgroup_size: 1024
    .name:           _Z21binomialOptionsKernelPK13__TOptionDataPf
    .private_segment_fixed_size: 0
    .sgpr_count:     22
    .sgpr_spill_count: 0
    .symbol:         _Z21binomialOptionsKernelPK13__TOptionDataPf.kd
    .uniform_work_group_size: 1
    .uses_dynamic_stack: false
    .vgpr_count:     64
    .vgpr_spill_count: 0
    .wavefront_size: 64
amdhsa.target:   amdgcn-amd-amdhsa--gfx950
amdhsa.version:
  - 1
  - 2
...

	.end_amdgpu_metadata
